;; amdgpu-corpus repo=ROCm/hip-tests kind=compiled arch=gfx1250 opt=O3
	.amdgcn_target "amdgcn-amd-amdhsa--gfx1250"
	.amdhsa_code_object_version 6
	.section	.text._ZL11managed_addm,"axG",@progbits,_ZL11managed_addm,comdat
	.globl	_ZL11managed_addm               ; -- Begin function _ZL11managed_addm
	.p2align	8
	.type	_ZL11managed_addm,@function
_ZL11managed_addm:                      ; @_ZL11managed_addm
; %bb.0:
	s_clause 0x1
	s_load_b32 s4, s[0:1], 0x14
	s_load_b64 s[2:3], s[0:1], 0x0
	s_wait_xcnt 0x0
	s_bfe_u32 s0, ttmp6, 0x4000c
	s_and_b32 s1, ttmp6, 15
	s_add_co_i32 s0, s0, 1
	s_getreg_b32 s5, hwreg(HW_REG_IB_STS2, 6, 4)
	s_mul_i32 s0, ttmp9, s0
	v_mov_b32_e32 v1, 0
	s_add_co_i32 s1, s1, s0
	s_wait_kmcnt 0x0
	s_and_b32 s4, s4, 0xffff
	s_cmp_eq_u32 s5, 0
	s_cselect_b32 s0, ttmp9, s1
	s_delay_alu instid0(SALU_CYCLE_1) | instskip(SKIP_1) | instid1(VALU_DEP_1)
	v_mad_u32 v0, s0, s4, v0
	s_mov_b32 s0, exec_lo
	v_cmpx_gt_u64_e64 s[2:3], v[0:1]
	s_cbranch_execz .LBB0_2
; %bb.1:
	s_get_pc_i64 s[0:1]
	s_add_nc_u64 s[0:1], s[0:1], m_A@rel64+4
	s_get_pc_i64 s[2:3]
	s_add_nc_u64 s[2:3], s[2:3], m_B@rel64+4
	s_load_b64 s[4:5], s[0:1], 0x0
	s_load_b64 s[6:7], s[2:3], 0x0
	v_lshlrev_b64_e32 v[0:1], 2, v[0:1]
	s_wait_kmcnt 0x0
	s_delay_alu instid0(VALU_DEP_1)
	v_add_nc_u64_e32 v[2:3], s[4:5], v[0:1]
	v_add_nc_u64_e32 v[0:1], s[6:7], v[0:1]
	global_load_b32 v4, v[2:3], off
	global_load_b32 v5, v[0:1], off
	s_wait_loadcnt 0x0
	v_add_f32_e32 v2, v4, v5
	global_store_b32 v[0:1], v2, off
.LBB0_2:
	s_endpgm
	.section	.rodata,"a",@progbits
	.p2align	6, 0x0
	.amdhsa_kernel _ZL11managed_addm
		.amdhsa_group_segment_fixed_size 0
		.amdhsa_private_segment_fixed_size 0
		.amdhsa_kernarg_size 264
		.amdhsa_user_sgpr_count 2
		.amdhsa_user_sgpr_dispatch_ptr 0
		.amdhsa_user_sgpr_queue_ptr 0
		.amdhsa_user_sgpr_kernarg_segment_ptr 1
		.amdhsa_user_sgpr_dispatch_id 0
		.amdhsa_user_sgpr_kernarg_preload_length 0
		.amdhsa_user_sgpr_kernarg_preload_offset 0
		.amdhsa_user_sgpr_private_segment_size 0
		.amdhsa_wavefront_size32 1
		.amdhsa_uses_dynamic_stack 0
		.amdhsa_enable_private_segment 0
		.amdhsa_system_sgpr_workgroup_id_x 1
		.amdhsa_system_sgpr_workgroup_id_y 0
		.amdhsa_system_sgpr_workgroup_id_z 0
		.amdhsa_system_sgpr_workgroup_info 0
		.amdhsa_system_vgpr_workitem_id 0
		.amdhsa_next_free_vgpr 6
		.amdhsa_next_free_sgpr 8
		.amdhsa_named_barrier_count 0
		.amdhsa_reserve_vcc 0
		.amdhsa_float_round_mode_32 0
		.amdhsa_float_round_mode_16_64 0
		.amdhsa_float_denorm_mode_32 3
		.amdhsa_float_denorm_mode_16_64 3
		.amdhsa_fp16_overflow 0
		.amdhsa_memory_ordered 1
		.amdhsa_forward_progress 1
		.amdhsa_inst_pref_size 2
		.amdhsa_round_robin_scheduling 0
		.amdhsa_exception_fp_ieee_invalid_op 0
		.amdhsa_exception_fp_denorm_src 0
		.amdhsa_exception_fp_ieee_div_zero 0
		.amdhsa_exception_fp_ieee_overflow 0
		.amdhsa_exception_fp_ieee_underflow 0
		.amdhsa_exception_fp_ieee_inexact 0
		.amdhsa_exception_int_div_zero 0
	.end_amdhsa_kernel
	.section	.text._ZL11managed_addm,"axG",@progbits,_ZL11managed_addm,comdat
.Lfunc_end0:
	.size	_ZL11managed_addm, .Lfunc_end0-_ZL11managed_addm
                                        ; -- End function
	.set _ZL11managed_addm.num_vgpr, 6
	.set _ZL11managed_addm.num_agpr, 0
	.set _ZL11managed_addm.numbered_sgpr, 8
	.set _ZL11managed_addm.num_named_barrier, 0
	.set _ZL11managed_addm.private_seg_size, 0
	.set _ZL11managed_addm.uses_vcc, 0
	.set _ZL11managed_addm.uses_flat_scratch, 0
	.set _ZL11managed_addm.has_dyn_sized_stack, 0
	.set _ZL11managed_addm.has_recursion, 0
	.set _ZL11managed_addm.has_indirect_call, 0
	.section	.AMDGPU.csdata,"",@progbits
; Kernel info:
; codeLenInByte = 220
; TotalNumSgprs: 8
; NumVgprs: 6
; ScratchSize: 0
; MemoryBound: 0
; FloatMode: 240
; IeeeMode: 1
; LDSByteSize: 0 bytes/workgroup (compile time only)
; SGPRBlocks: 0
; VGPRBlocks: 0
; NumSGPRsForWavesPerEU: 8
; NumVGPRsForWavesPerEU: 6
; NamedBarCnt: 0
; Occupancy: 16
; WaveLimiterHint : 1
; COMPUTE_PGM_RSRC2:SCRATCH_EN: 0
; COMPUTE_PGM_RSRC2:USER_SGPR: 2
; COMPUTE_PGM_RSRC2:TRAP_HANDLER: 0
; COMPUTE_PGM_RSRC2:TGID_X_EN: 1
; COMPUTE_PGM_RSRC2:TGID_Y_EN: 0
; COMPUTE_PGM_RSRC2:TGID_Z_EN: 0
; COMPUTE_PGM_RSRC2:TIDIG_COMP_CNT: 0
	.section	.text._ZL11managed_incv,"axG",@progbits,_ZL11managed_incv,comdat
	.globl	_ZL11managed_incv               ; -- Begin function _ZL11managed_incv
	.p2align	8
	.type	_ZL11managed_incv,@function
_ZL11managed_incv:                      ; @_ZL11managed_incv
; %bb.0:
	s_mov_b32 s0, exec_lo
	s_mov_b32 s1, exec_lo
	v_mbcnt_lo_u32_b32 v0, s0, 0
	s_delay_alu instid0(VALU_DEP_1)
	v_cmpx_eq_u32_e32 0, v0
	s_cbranch_execz .LBB1_2
; %bb.1:
	s_get_pc_i64 s[2:3]
	s_add_nc_u64 s[2:3], s[2:3], m_X@rel64+4
	s_bcnt1_i32_b32 s0, s0
	s_load_b64 s[2:3], s[2:3], 0x0
	v_dual_mov_b32 v0, 0 :: v_dual_mov_b32 v1, s0
	s_wait_xcnt 0x0
	s_wait_kmcnt 0x0
	global_atomic_add_u32 v0, v1, s[2:3] scope:SCOPE_DEV
.LBB1_2:
	s_endpgm
	.section	.rodata,"a",@progbits
	.p2align	6, 0x0
	.amdhsa_kernel _ZL11managed_incv
		.amdhsa_group_segment_fixed_size 0
		.amdhsa_private_segment_fixed_size 0
		.amdhsa_kernarg_size 0
		.amdhsa_user_sgpr_count 0
		.amdhsa_user_sgpr_dispatch_ptr 0
		.amdhsa_user_sgpr_queue_ptr 0
		.amdhsa_user_sgpr_kernarg_segment_ptr 0
		.amdhsa_user_sgpr_dispatch_id 0
		.amdhsa_user_sgpr_kernarg_preload_length 0
		.amdhsa_user_sgpr_kernarg_preload_offset 0
		.amdhsa_user_sgpr_private_segment_size 0
		.amdhsa_wavefront_size32 1
		.amdhsa_uses_dynamic_stack 0
		.amdhsa_enable_private_segment 0
		.amdhsa_system_sgpr_workgroup_id_x 1
		.amdhsa_system_sgpr_workgroup_id_y 0
		.amdhsa_system_sgpr_workgroup_id_z 0
		.amdhsa_system_sgpr_workgroup_info 0
		.amdhsa_system_vgpr_workitem_id 0
		.amdhsa_next_free_vgpr 2
		.amdhsa_next_free_sgpr 4
		.amdhsa_named_barrier_count 0
		.amdhsa_reserve_vcc 0
		.amdhsa_float_round_mode_32 0
		.amdhsa_float_round_mode_16_64 0
		.amdhsa_float_denorm_mode_32 3
		.amdhsa_float_denorm_mode_16_64 3
		.amdhsa_fp16_overflow 0
		.amdhsa_memory_ordered 1
		.amdhsa_forward_progress 1
		.amdhsa_inst_pref_size 1
		.amdhsa_round_robin_scheduling 0
		.amdhsa_exception_fp_ieee_invalid_op 0
		.amdhsa_exception_fp_denorm_src 0
		.amdhsa_exception_fp_ieee_div_zero 0
		.amdhsa_exception_fp_ieee_overflow 0
		.amdhsa_exception_fp_ieee_underflow 0
		.amdhsa_exception_fp_ieee_inexact 0
		.amdhsa_exception_int_div_zero 0
	.end_amdhsa_kernel
	.section	.text._ZL11managed_incv,"axG",@progbits,_ZL11managed_incv,comdat
.Lfunc_end1:
	.size	_ZL11managed_incv, .Lfunc_end1-_ZL11managed_incv
                                        ; -- End function
	.set _ZL11managed_incv.num_vgpr, 2
	.set _ZL11managed_incv.num_agpr, 0
	.set _ZL11managed_incv.numbered_sgpr, 4
	.set _ZL11managed_incv.num_named_barrier, 0
	.set _ZL11managed_incv.private_seg_size, 0
	.set _ZL11managed_incv.uses_vcc, 0
	.set _ZL11managed_incv.uses_flat_scratch, 0
	.set _ZL11managed_incv.has_dyn_sized_stack, 0
	.set _ZL11managed_incv.has_recursion, 0
	.set _ZL11managed_incv.has_indirect_call, 0
	.section	.AMDGPU.csdata,"",@progbits
; Kernel info:
; codeLenInByte = 88
; TotalNumSgprs: 4
; NumVgprs: 2
; ScratchSize: 0
; MemoryBound: 0
; FloatMode: 240
; IeeeMode: 1
; LDSByteSize: 0 bytes/workgroup (compile time only)
; SGPRBlocks: 0
; VGPRBlocks: 0
; NumSGPRsForWavesPerEU: 4
; NumVGPRsForWavesPerEU: 2
; NamedBarCnt: 0
; Occupancy: 16
; WaveLimiterHint : 1
; COMPUTE_PGM_RSRC2:SCRATCH_EN: 0
; COMPUTE_PGM_RSRC2:USER_SGPR: 0
; COMPUTE_PGM_RSRC2:TRAP_HANDLER: 0
; COMPUTE_PGM_RSRC2:TGID_X_EN: 1
; COMPUTE_PGM_RSRC2:TGID_Y_EN: 0
; COMPUTE_PGM_RSRC2:TGID_Z_EN: 0
; COMPUTE_PGM_RSRC2:TIDIG_COMP_CNT: 0
	.section	.text._ZL13managed_touchPi,"axG",@progbits,_ZL13managed_touchPi,comdat
	.globl	_ZL13managed_touchPi            ; -- Begin function _ZL13managed_touchPi
	.p2align	8
	.type	_ZL13managed_touchPi,@function
_ZL13managed_touchPi:                   ; @_ZL13managed_touchPi
; %bb.0:
	s_endpgm
	.section	.rodata,"a",@progbits
	.p2align	6, 0x0
	.amdhsa_kernel _ZL13managed_touchPi
		.amdhsa_group_segment_fixed_size 0
		.amdhsa_private_segment_fixed_size 0
		.amdhsa_kernarg_size 8
		.amdhsa_user_sgpr_count 2
		.amdhsa_user_sgpr_dispatch_ptr 0
		.amdhsa_user_sgpr_queue_ptr 0
		.amdhsa_user_sgpr_kernarg_segment_ptr 1
		.amdhsa_user_sgpr_dispatch_id 0
		.amdhsa_user_sgpr_kernarg_preload_length 0
		.amdhsa_user_sgpr_kernarg_preload_offset 0
		.amdhsa_user_sgpr_private_segment_size 0
		.amdhsa_wavefront_size32 1
		.amdhsa_uses_dynamic_stack 0
		.amdhsa_enable_private_segment 0
		.amdhsa_system_sgpr_workgroup_id_x 1
		.amdhsa_system_sgpr_workgroup_id_y 0
		.amdhsa_system_sgpr_workgroup_id_z 0
		.amdhsa_system_sgpr_workgroup_info 0
		.amdhsa_system_vgpr_workitem_id 0
		.amdhsa_next_free_vgpr 1
		.amdhsa_next_free_sgpr 1
		.amdhsa_named_barrier_count 0
		.amdhsa_reserve_vcc 0
		.amdhsa_float_round_mode_32 0
		.amdhsa_float_round_mode_16_64 0
		.amdhsa_float_denorm_mode_32 3
		.amdhsa_float_denorm_mode_16_64 3
		.amdhsa_fp16_overflow 0
		.amdhsa_memory_ordered 1
		.amdhsa_forward_progress 1
		.amdhsa_inst_pref_size 1
		.amdhsa_round_robin_scheduling 0
		.amdhsa_exception_fp_ieee_invalid_op 0
		.amdhsa_exception_fp_denorm_src 0
		.amdhsa_exception_fp_ieee_div_zero 0
		.amdhsa_exception_fp_ieee_overflow 0
		.amdhsa_exception_fp_ieee_underflow 0
		.amdhsa_exception_fp_ieee_inexact 0
		.amdhsa_exception_int_div_zero 0
	.end_amdhsa_kernel
	.section	.text._ZL13managed_touchPi,"axG",@progbits,_ZL13managed_touchPi,comdat
.Lfunc_end2:
	.size	_ZL13managed_touchPi, .Lfunc_end2-_ZL13managed_touchPi
                                        ; -- End function
	.set _ZL13managed_touchPi.num_vgpr, 0
	.set _ZL13managed_touchPi.num_agpr, 0
	.set _ZL13managed_touchPi.numbered_sgpr, 0
	.set _ZL13managed_touchPi.num_named_barrier, 0
	.set _ZL13managed_touchPi.private_seg_size, 0
	.set _ZL13managed_touchPi.uses_vcc, 0
	.set _ZL13managed_touchPi.uses_flat_scratch, 0
	.set _ZL13managed_touchPi.has_dyn_sized_stack, 0
	.set _ZL13managed_touchPi.has_recursion, 0
	.set _ZL13managed_touchPi.has_indirect_call, 0
	.section	.AMDGPU.csdata,"",@progbits
; Kernel info:
; codeLenInByte = 4
; TotalNumSgprs: 0
; NumVgprs: 0
; ScratchSize: 0
; MemoryBound: 0
; FloatMode: 240
; IeeeMode: 1
; LDSByteSize: 0 bytes/workgroup (compile time only)
; SGPRBlocks: 0
; VGPRBlocks: 0
; NumSGPRsForWavesPerEU: 1
; NumVGPRsForWavesPerEU: 1
; NamedBarCnt: 0
; Occupancy: 16
; WaveLimiterHint : 0
; COMPUTE_PGM_RSRC2:SCRATCH_EN: 0
; COMPUTE_PGM_RSRC2:USER_SGPR: 2
; COMPUTE_PGM_RSRC2:TRAP_HANDLER: 0
; COMPUTE_PGM_RSRC2:TGID_X_EN: 1
; COMPUTE_PGM_RSRC2:TGID_Y_EN: 0
; COMPUTE_PGM_RSRC2:TGID_Z_EN: 0
; COMPUTE_PGM_RSRC2:TIDIG_COMP_CNT: 0
	.section	.AMDGPU.gpr_maximums,"",@progbits
	.set amdgpu.max_num_vgpr, 0
	.set amdgpu.max_num_agpr, 0
	.set amdgpu.max_num_sgpr, 0
	.section	.AMDGPU.csdata,"",@progbits
	.protected	m_A.managed             ; @m_A.managed
	.type	m_A.managed,@object
	.section	.bss,"aw",@nobits
	.globl	m_A.managed
	.p2align	4, 0x0
m_A.managed:
	.zero	4194304
	.size	m_A.managed, 4194304

	.protected	m_B.managed             ; @m_B.managed
	.type	m_B.managed,@object
	.globl	m_B.managed
	.p2align	4, 0x0
m_B.managed:
	.zero	4194304
	.size	m_B.managed, 4194304

	.protected	m_X.managed             ; @m_X.managed
	.type	m_X.managed,@object
	.globl	m_X.managed
	.p2align	2, 0x0
m_X.managed:
	.long	0                               ; 0x0
	.size	m_X.managed, 4

	.protected	m_pa_before.managed     ; @m_pa_before.managed
	.type	m_pa_before.managed,@object
	.globl	m_pa_before.managed
	.p2align	2, 0x0
m_pa_before.managed:
	.long	0                               ; 0x0
	.size	m_pa_before.managed, 4

	.protected	m_pa_after.managed      ; @m_pa_after.managed
	.type	m_pa_after.managed,@object
	.globl	m_pa_after.managed
	.p2align	2, 0x0
m_pa_after.managed:
	.long	0                               ; 0x0
	.size	m_pa_after.managed, 4

	.protected	m_A                     ; @m_A
	.type	m_A,@object
	.globl	m_A
	.p2align	3, 0x0
m_A:
	.quad	0
	.size	m_A, 8

	.protected	m_B                     ; @m_B
	.type	m_B,@object
	.globl	m_B
	.p2align	3, 0x0
m_B:
	.quad	0
	.size	m_B, 8

	.protected	m_X                     ; @m_X
	.type	m_X,@object
	.globl	m_X
	.p2align	3, 0x0
m_X:
	.quad	0
	.size	m_X, 8

	.protected	m_pa_before             ; @m_pa_before
	.type	m_pa_before,@object
	.globl	m_pa_before
	.p2align	3, 0x0
m_pa_before:
	.quad	0
	.size	m_pa_before, 8

	.protected	m_pa_after              ; @m_pa_after
	.type	m_pa_after,@object
	.globl	m_pa_after
	.p2align	3, 0x0
m_pa_after:
	.quad	0
	.size	m_pa_after, 8

	.type	__hip_cuid_882f48fba9fad8f8,@object ; @__hip_cuid_882f48fba9fad8f8
	.globl	__hip_cuid_882f48fba9fad8f8
__hip_cuid_882f48fba9fad8f8:
	.byte	0                               ; 0x0
	.size	__hip_cuid_882f48fba9fad8f8, 1

	.ident	"AMD clang version 22.0.0git (https://github.com/RadeonOpenCompute/llvm-project roc-7.2.4 26084 f58b06dce1f9c15707c5f808fd002e18c2accf7e)"
	.section	".note.GNU-stack","",@progbits
	.addrsig
	.addrsig_sym m_A.managed
	.addrsig_sym m_B.managed
	.addrsig_sym m_X.managed
	.addrsig_sym m_pa_before.managed
	.addrsig_sym m_pa_after.managed
	.addrsig_sym m_A
	.addrsig_sym m_B
	.addrsig_sym m_X
	.addrsig_sym m_pa_before
	.addrsig_sym m_pa_after
	.addrsig_sym __hip_cuid_882f48fba9fad8f8
	.amdgpu_metadata
---
amdhsa.kernels:
  - .args:
      - .offset:         0
        .size:           8
        .value_kind:     by_value
      - .offset:         8
        .size:           4
        .value_kind:     hidden_block_count_x
      - .offset:         12
        .size:           4
        .value_kind:     hidden_block_count_y
      - .offset:         16
        .size:           4
        .value_kind:     hidden_block_count_z
      - .offset:         20
        .size:           2
        .value_kind:     hidden_group_size_x
      - .offset:         22
        .size:           2
        .value_kind:     hidden_group_size_y
      - .offset:         24
        .size:           2
        .value_kind:     hidden_group_size_z
      - .offset:         26
        .size:           2
        .value_kind:     hidden_remainder_x
      - .offset:         28
        .size:           2
        .value_kind:     hidden_remainder_y
      - .offset:         30
        .size:           2
        .value_kind:     hidden_remainder_z
      - .offset:         48
        .size:           8
        .value_kind:     hidden_global_offset_x
      - .offset:         56
        .size:           8
        .value_kind:     hidden_global_offset_y
      - .offset:         64
        .size:           8
        .value_kind:     hidden_global_offset_z
      - .offset:         72
        .size:           2
        .value_kind:     hidden_grid_dims
    .group_segment_fixed_size: 0
    .kernarg_segment_align: 8
    .kernarg_segment_size: 264
    .language:       OpenCL C
    .language_version:
      - 2
      - 0
    .max_flat_workgroup_size: 1024
    .name:           _ZL11managed_addm
    .private_segment_fixed_size: 0
    .sgpr_count:     8
    .sgpr_spill_count: 0
    .symbol:         _ZL11managed_addm.kd
    .uniform_work_group_size: 1
    .uses_dynamic_stack: false
    .vgpr_count:     6
    .vgpr_spill_count: 0
    .wavefront_size: 32
  - .args:           []
    .group_segment_fixed_size: 0
    .kernarg_segment_align: 4
    .kernarg_segment_size: 0
    .language:       OpenCL C
    .language_version:
      - 2
      - 0
    .max_flat_workgroup_size: 1024
    .name:           _ZL11managed_incv
    .private_segment_fixed_size: 0
    .sgpr_count:     4
    .sgpr_spill_count: 0
    .symbol:         _ZL11managed_incv.kd
    .uniform_work_group_size: 1
    .uses_dynamic_stack: false
    .vgpr_count:     2
    .vgpr_spill_count: 0
    .wavefront_size: 32
  - .args:
      - .address_space:  global
        .offset:         0
        .size:           8
        .value_kind:     global_buffer
    .group_segment_fixed_size: 0
    .kernarg_segment_align: 8
    .kernarg_segment_size: 8
    .language:       OpenCL C
    .language_version:
      - 2
      - 0
    .max_flat_workgroup_size: 1024
    .name:           _ZL13managed_touchPi
    .private_segment_fixed_size: 0
    .sgpr_count:     0
    .sgpr_spill_count: 0
    .symbol:         _ZL13managed_touchPi.kd
    .uniform_work_group_size: 1
    .uses_dynamic_stack: false
    .vgpr_count:     0
    .vgpr_spill_count: 0
    .wavefront_size: 32
amdhsa.target:   amdgcn-amd-amdhsa--gfx1250
amdhsa.version:
  - 1
  - 2
...

	.end_amdgpu_metadata
